;; amdgpu-corpus repo=ROCm/rocFFT kind=compiled arch=gfx950 opt=O3
	.text
	.amdgcn_target "amdgcn-amd-amdhsa--gfx950"
	.amdhsa_code_object_version 6
	.protected	fft_rtc_back_len33_factors_11_3_wgs_253_tpt_11_halfLds_half_ip_CI_sbrr_dirReg ; -- Begin function fft_rtc_back_len33_factors_11_3_wgs_253_tpt_11_halfLds_half_ip_CI_sbrr_dirReg
	.globl	fft_rtc_back_len33_factors_11_3_wgs_253_tpt_11_halfLds_half_ip_CI_sbrr_dirReg
	.p2align	8
	.type	fft_rtc_back_len33_factors_11_3_wgs_253_tpt_11_halfLds_half_ip_CI_sbrr_dirReg,@function
fft_rtc_back_len33_factors_11_3_wgs_253_tpt_11_halfLds_half_ip_CI_sbrr_dirReg: ; @fft_rtc_back_len33_factors_11_3_wgs_253_tpt_11_halfLds_half_ip_CI_sbrr_dirReg
; %bb.0:
	s_load_dwordx2 s[12:13], s[0:1], 0x18
	s_load_dwordx4 s[4:7], s[0:1], 0x0
	s_load_dwordx2 s[10:11], s[0:1], 0x50
	v_mul_u32_u24_e32 v1, 0x1746, v0
	v_lshrrev_b32_e32 v2, 16, v1
	s_waitcnt lgkmcnt(0)
	s_load_dwordx2 s[8:9], s[12:13], 0x0
	v_mad_u64_u32 v[4:5], s[2:3], s2, 23, v[2:3]
	v_mov_b32_e32 v6, 0
	v_mov_b32_e32 v5, v6
	v_cmp_lt_u64_e64 s[2:3], s[6:7], 2
	s_and_b64 vcc, exec, s[2:3]
	v_mov_b64_e32 v[2:3], 0
	v_mov_b64_e32 v[10:11], v[4:5]
	s_cbranch_vccnz .LBB0_8
; %bb.1:
	s_load_dwordx2 s[2:3], s[0:1], 0x10
	s_add_u32 s14, s12, 8
	s_addc_u32 s15, s13, 0
	s_mov_b64 s[16:17], 1
	v_mov_b64_e32 v[2:3], 0
	s_waitcnt lgkmcnt(0)
	s_add_u32 s18, s2, 8
	s_addc_u32 s19, s3, 0
	v_mov_b64_e32 v[8:9], v[4:5]
.LBB0_2:                                ; =>This Inner Loop Header: Depth=1
	s_load_dwordx2 s[20:21], s[18:19], 0x0
                                        ; implicit-def: $vgpr10_vgpr11
	s_waitcnt lgkmcnt(0)
	v_or_b32_e32 v7, s21, v9
	v_cmp_ne_u64_e32 vcc, 0, v[6:7]
	s_and_saveexec_b64 s[2:3], vcc
	s_xor_b64 s[22:23], exec, s[2:3]
	s_cbranch_execz .LBB0_4
; %bb.3:                                ;   in Loop: Header=BB0_2 Depth=1
	v_cvt_f32_u32_e32 v1, s20
	v_cvt_f32_u32_e32 v5, s21
	s_sub_u32 s2, 0, s20
	s_subb_u32 s3, 0, s21
	v_fmac_f32_e32 v1, 0x4f800000, v5
	v_rcp_f32_e32 v1, v1
	s_nop 0
	v_mul_f32_e32 v1, 0x5f7ffffc, v1
	v_mul_f32_e32 v5, 0x2f800000, v1
	v_trunc_f32_e32 v5, v5
	v_fmac_f32_e32 v1, 0xcf800000, v5
	v_cvt_u32_f32_e32 v5, v5
	v_cvt_u32_f32_e32 v1, v1
	v_mul_lo_u32 v7, s2, v5
	v_mul_hi_u32 v10, s2, v1
	v_mul_lo_u32 v11, s3, v1
	v_add_u32_e32 v7, v10, v7
	v_mul_lo_u32 v14, s2, v1
	v_add_u32_e32 v7, v7, v11
	v_mul_hi_u32 v10, v1, v14
	v_mul_hi_u32 v13, v1, v7
	v_mul_lo_u32 v12, v1, v7
	v_mov_b32_e32 v11, v6
	v_lshl_add_u64 v[10:11], v[10:11], 0, v[12:13]
	v_mul_hi_u32 v13, v5, v14
	v_mul_lo_u32 v14, v5, v14
	v_add_co_u32_e32 v10, vcc, v10, v14
	v_mul_hi_u32 v12, v5, v7
	s_nop 0
	v_addc_co_u32_e32 v10, vcc, v11, v13, vcc
	v_mov_b32_e32 v11, v6
	s_nop 0
	v_addc_co_u32_e32 v13, vcc, 0, v12, vcc
	v_mul_lo_u32 v12, v5, v7
	v_lshl_add_u64 v[10:11], v[10:11], 0, v[12:13]
	v_add_co_u32_e32 v1, vcc, v1, v10
	v_mul_hi_u32 v10, s2, v1
	s_nop 0
	v_addc_co_u32_e32 v5, vcc, v5, v11, vcc
	v_mul_lo_u32 v7, s2, v5
	v_add_u32_e32 v7, v10, v7
	v_mul_lo_u32 v10, s3, v1
	v_add_u32_e32 v7, v7, v10
	v_mul_lo_u32 v12, s2, v1
	v_mul_hi_u32 v15, v5, v12
	v_mul_lo_u32 v16, v5, v12
	v_mul_hi_u32 v11, v1, v7
	;; [unrolled: 2-line block ×3, first 2 shown]
	v_mov_b32_e32 v13, v6
	v_lshl_add_u64 v[10:11], v[12:13], 0, v[10:11]
	v_add_co_u32_e32 v10, vcc, v10, v16
	v_mul_hi_u32 v14, v5, v7
	s_nop 0
	v_addc_co_u32_e32 v10, vcc, v11, v15, vcc
	v_mul_lo_u32 v12, v5, v7
	s_nop 0
	v_addc_co_u32_e32 v13, vcc, 0, v14, vcc
	v_mov_b32_e32 v11, v6
	v_lshl_add_u64 v[10:11], v[10:11], 0, v[12:13]
	v_add_co_u32_e32 v1, vcc, v1, v10
	v_mul_hi_u32 v12, v8, v1
	s_nop 0
	v_addc_co_u32_e32 v5, vcc, v5, v11, vcc
	v_mad_u64_u32 v[10:11], s[2:3], v8, v5, 0
	v_mov_b32_e32 v13, v6
	v_lshl_add_u64 v[10:11], v[12:13], 0, v[10:11]
	v_mad_u64_u32 v[14:15], s[2:3], v9, v1, 0
	v_add_co_u32_e32 v1, vcc, v10, v14
	v_mad_u64_u32 v[12:13], s[2:3], v9, v5, 0
	s_nop 0
	v_addc_co_u32_e32 v10, vcc, v11, v15, vcc
	v_mov_b32_e32 v11, v6
	s_nop 0
	v_addc_co_u32_e32 v13, vcc, 0, v13, vcc
	v_lshl_add_u64 v[10:11], v[10:11], 0, v[12:13]
	v_mul_lo_u32 v1, s21, v10
	v_mul_lo_u32 v5, s20, v11
	v_mad_u64_u32 v[12:13], s[2:3], s20, v10, 0
	v_add3_u32 v1, v13, v5, v1
	v_sub_u32_e32 v5, v9, v1
	v_mov_b32_e32 v7, s21
	v_sub_co_u32_e32 v16, vcc, v8, v12
	v_lshl_add_u64 v[14:15], v[10:11], 0, 1
	s_nop 0
	v_subb_co_u32_e64 v5, s[2:3], v5, v7, vcc
	v_subrev_co_u32_e64 v7, s[2:3], s20, v16
	v_subb_co_u32_e32 v1, vcc, v9, v1, vcc
	s_nop 0
	v_subbrev_co_u32_e64 v5, s[2:3], 0, v5, s[2:3]
	v_cmp_le_u32_e64 s[2:3], s21, v5
	v_cmp_le_u32_e32 vcc, s21, v1
	s_nop 0
	v_cndmask_b32_e64 v12, 0, -1, s[2:3]
	v_cmp_le_u32_e64 s[2:3], s20, v7
	s_nop 1
	v_cndmask_b32_e64 v7, 0, -1, s[2:3]
	v_cmp_eq_u32_e64 s[2:3], s21, v5
	s_nop 1
	v_cndmask_b32_e64 v5, v12, v7, s[2:3]
	v_lshl_add_u64 v[12:13], v[10:11], 0, 2
	v_cmp_ne_u32_e64 s[2:3], 0, v5
	v_cndmask_b32_e64 v7, 0, -1, vcc
	v_cmp_le_u32_e32 vcc, s20, v16
	v_cndmask_b32_e64 v5, v15, v13, s[2:3]
	s_nop 0
	v_cndmask_b32_e64 v13, 0, -1, vcc
	v_cmp_eq_u32_e32 vcc, s21, v1
	s_nop 1
	v_cndmask_b32_e32 v1, v7, v13, vcc
	v_cmp_ne_u32_e32 vcc, 0, v1
	v_cndmask_b32_e64 v1, v14, v12, s[2:3]
	s_nop 0
	v_cndmask_b32_e32 v11, v11, v5, vcc
	v_cndmask_b32_e32 v10, v10, v1, vcc
.LBB0_4:                                ;   in Loop: Header=BB0_2 Depth=1
	s_andn2_saveexec_b64 s[2:3], s[22:23]
	s_cbranch_execz .LBB0_6
; %bb.5:                                ;   in Loop: Header=BB0_2 Depth=1
	v_cvt_f32_u32_e32 v1, s20
	s_sub_i32 s22, 0, s20
	v_mov_b32_e32 v11, v6
	v_rcp_iflag_f32_e32 v1, v1
	s_nop 0
	v_mul_f32_e32 v1, 0x4f7ffffe, v1
	v_cvt_u32_f32_e32 v1, v1
	v_mul_lo_u32 v5, s22, v1
	v_mul_hi_u32 v5, v1, v5
	v_add_u32_e32 v1, v1, v5
	v_mul_hi_u32 v1, v8, v1
	v_mul_lo_u32 v5, v1, s20
	v_sub_u32_e32 v5, v8, v5
	v_add_u32_e32 v7, 1, v1
	v_subrev_u32_e32 v10, s20, v5
	v_cmp_le_u32_e32 vcc, s20, v5
	s_nop 1
	v_cndmask_b32_e32 v5, v5, v10, vcc
	v_cndmask_b32_e32 v1, v1, v7, vcc
	v_add_u32_e32 v7, 1, v1
	v_cmp_le_u32_e32 vcc, s20, v5
	s_nop 1
	v_cndmask_b32_e32 v10, v1, v7, vcc
.LBB0_6:                                ;   in Loop: Header=BB0_2 Depth=1
	s_or_b64 exec, exec, s[2:3]
	v_mad_u64_u32 v[12:13], s[2:3], v10, s20, 0
	s_load_dwordx2 s[2:3], s[14:15], 0x0
	s_add_u32 s16, s16, 1
	v_mul_lo_u32 v1, v11, s20
	v_mul_lo_u32 v5, v10, s21
	s_addc_u32 s17, s17, 0
	v_add3_u32 v1, v13, v5, v1
	v_sub_co_u32_e32 v5, vcc, v8, v12
	s_add_u32 s14, s14, 8
	s_nop 0
	v_subb_co_u32_e32 v1, vcc, v9, v1, vcc
	s_addc_u32 s15, s15, 0
	v_mov_b64_e32 v[8:9], s[6:7]
	s_waitcnt lgkmcnt(0)
	v_mul_lo_u32 v1, s2, v1
	v_mul_lo_u32 v7, s3, v5
	v_mad_u64_u32 v[2:3], s[2:3], s2, v5, v[2:3]
	s_add_u32 s18, s18, 8
	v_cmp_ge_u64_e32 vcc, s[16:17], v[8:9]
	v_add3_u32 v3, v7, v3, v1
	s_addc_u32 s19, s19, 0
	s_cbranch_vccnz .LBB0_8
; %bb.7:                                ;   in Loop: Header=BB0_2 Depth=1
	v_mov_b64_e32 v[8:9], v[10:11]
	s_branch .LBB0_2
.LBB0_8:
	s_lshl_b64 s[2:3], s[6:7], 3
	s_add_u32 s2, s12, s2
	s_addc_u32 s3, s13, s3
	s_load_dwordx2 s[6:7], s[2:3], 0x0
	s_load_dwordx2 s[12:13], s[0:1], 0x20
	v_mov_b32_e32 v6, 0
                                        ; implicit-def: $vgpr24
                                        ; implicit-def: $vgpr13
                                        ; implicit-def: $vgpr22
                                        ; implicit-def: $vgpr12
                                        ; implicit-def: $vgpr20
                                        ; implicit-def: $vgpr17
                                        ; implicit-def: $vgpr9
                                        ; implicit-def: $vgpr14
                                        ; implicit-def: $vgpr7
                                        ; implicit-def: $vgpr26
                                        ; implicit-def: $vgpr23
                                        ; implicit-def: $vgpr25
                                        ; implicit-def: $vgpr19
                                        ; implicit-def: $vgpr21
                                        ; implicit-def: $vgpr16
                                        ; implicit-def: $vgpr18
                                        ; implicit-def: $vgpr15
                                        ; implicit-def: $vgpr8
	s_waitcnt lgkmcnt(0)
	v_mad_u64_u32 v[2:3], s[0:1], s6, v10, v[2:3]
	v_mul_lo_u32 v1, s6, v11
	v_mul_lo_u32 v5, s7, v10
	s_mov_b32 s0, 0x1745d175
	v_add3_u32 v3, v5, v3, v1
	v_mul_hi_u32 v1, v0, s0
	v_mul_u32_u24_e32 v1, 11, v1
	v_cmp_gt_u64_e32 vcc, s[12:13], v[10:11]
	v_sub_u32_e32 v1, v0, v1
	v_mov_b32_e32 v5, 0
	v_mov_b32_e32 v0, 0
                                        ; implicit-def: $vgpr11
                                        ; implicit-def: $vgpr10
	s_and_saveexec_b64 s[2:3], vcc
	s_cbranch_execz .LBB0_12
; %bb.9:
	v_cmp_gt_u32_e64 s[0:1], 3, v1
	v_mov_b32_e32 v0, 0
	v_mov_b32_e32 v6, 0
                                        ; implicit-def: $vgpr8
                                        ; implicit-def: $vgpr15
                                        ; implicit-def: $vgpr10
                                        ; implicit-def: $vgpr18
                                        ; implicit-def: $vgpr16
                                        ; implicit-def: $vgpr21
                                        ; implicit-def: $vgpr19
                                        ; implicit-def: $vgpr25
                                        ; implicit-def: $vgpr23
                                        ; implicit-def: $vgpr26
                                        ; implicit-def: $vgpr7
                                        ; implicit-def: $vgpr14
                                        ; implicit-def: $vgpr9
                                        ; implicit-def: $vgpr17
                                        ; implicit-def: $vgpr11
                                        ; implicit-def: $vgpr20
                                        ; implicit-def: $vgpr12
                                        ; implicit-def: $vgpr22
                                        ; implicit-def: $vgpr13
                                        ; implicit-def: $vgpr24
	s_and_saveexec_b64 s[6:7], s[0:1]
	s_cbranch_execz .LBB0_11
; %bb.10:
	v_mad_u64_u32 v[6:7], s[0:1], s8, v1, 0
	v_mov_b32_e32 v0, v7
	v_mad_u64_u32 v[8:9], s[0:1], s9, v1, v[0:1]
	v_mov_b32_e32 v7, v8
	v_lshl_add_u64 v[14:15], v[2:3], 2, s[10:11]
	v_add_u32_e32 v5, 3, v1
	v_lshl_add_u64 v[16:17], v[6:7], 2, v[14:15]
	v_mad_u64_u32 v[6:7], s[0:1], s8, v5, 0
	v_mov_b32_e32 v0, v7
	v_mad_u64_u32 v[8:9], s[0:1], s9, v5, v[0:1]
	v_mov_b32_e32 v7, v8
	v_add_u32_e32 v5, 6, v1
	v_lshl_add_u64 v[18:19], v[6:7], 2, v[14:15]
	v_mad_u64_u32 v[6:7], s[0:1], s8, v5, 0
	v_mov_b32_e32 v0, v7
	v_mad_u64_u32 v[8:9], s[0:1], s9, v5, v[0:1]
	v_mov_b32_e32 v7, v8
	v_add_u32_e32 v5, 9, v1
	v_lshl_add_u64 v[20:21], v[6:7], 2, v[14:15]
	v_mad_u64_u32 v[6:7], s[0:1], s8, v5, 0
	v_mov_b32_e32 v0, v7
	v_mad_u64_u32 v[8:9], s[0:1], s9, v5, v[0:1]
	v_mov_b32_e32 v7, v8
	v_or_b32_e32 v5, 12, v1
	v_lshl_add_u64 v[22:23], v[6:7], 2, v[14:15]
	v_mad_u64_u32 v[6:7], s[0:1], s8, v5, 0
	v_mov_b32_e32 v0, v7
	v_mad_u64_u32 v[8:9], s[0:1], s9, v5, v[0:1]
	v_mov_b32_e32 v7, v8
	v_add_u32_e32 v5, 15, v1
	v_lshl_add_u64 v[24:25], v[6:7], 2, v[14:15]
	v_mad_u64_u32 v[6:7], s[0:1], s8, v5, 0
	v_mov_b32_e32 v0, v7
	v_mad_u64_u32 v[8:9], s[0:1], s9, v5, v[0:1]
	v_mov_b32_e32 v7, v8
	v_add_u32_e32 v5, 18, v1
	;; [unrolled: 6-line block ×3, first 2 shown]
	v_lshl_add_u64 v[28:29], v[6:7], 2, v[14:15]
	v_mad_u64_u32 v[6:7], s[0:1], s8, v5, 0
	v_mov_b32_e32 v0, v7
	v_mad_u64_u32 v[8:9], s[0:1], s9, v5, v[0:1]
	v_mov_b32_e32 v7, v8
	v_lshl_add_u64 v[30:31], v[6:7], 2, v[14:15]
	global_load_dword v0, v[16:17], off
	global_load_dword v13, v[18:19], off
	;; [unrolled: 1-line block ×8, first 2 shown]
	v_or_b32_e32 v5, 24, v1
	v_mad_u64_u32 v[16:17], s[0:1], s8, v5, 0
	v_mov_b32_e32 v6, v17
	s_waitcnt vmcnt(5)
	v_lshrrev_b32_e32 v22, 16, v12
	s_waitcnt vmcnt(2)
	v_mad_u64_u32 v[18:19], s[0:1], s9, v5, v[6:7]
	v_mov_b32_e32 v17, v18
	v_add_u32_e32 v5, 27, v1
	v_lshl_add_u64 v[20:21], v[16:17], 2, v[14:15]
	v_mad_u64_u32 v[16:17], s[0:1], s8, v5, 0
	v_mov_b32_e32 v6, v17
	v_mad_u64_u32 v[18:19], s[0:1], s9, v5, v[6:7]
	v_mov_b32_e32 v17, v18
	v_add_u32_e32 v5, 30, v1
	v_lshl_add_u64 v[24:25], v[16:17], 2, v[14:15]
	v_mad_u64_u32 v[16:17], s[0:1], s8, v5, 0
	v_mov_b32_e32 v6, v17
	v_mad_u64_u32 v[18:19], s[0:1], s9, v5, v[6:7]
	v_mov_b32_e32 v17, v18
	v_lshl_add_u64 v[14:15], v[16:17], 2, v[14:15]
	global_load_dword v16, v[20:21], off
	global_load_dword v19, v[24:25], off
	;; [unrolled: 1-line block ×3, first 2 shown]
	v_lshrrev_b32_e32 v6, 16, v0
	v_lshrrev_b32_e32 v24, 16, v13
	;; [unrolled: 1-line block ×5, first 2 shown]
	s_waitcnt vmcnt(4)
	v_lshrrev_b32_e32 v15, 16, v8
	s_waitcnt vmcnt(3)
	v_lshrrev_b32_e32 v18, 16, v10
	;; [unrolled: 2-line block ×5, first 2 shown]
.LBB0_11:
	s_or_b64 exec, exec, s[6:7]
	v_mov_b32_e32 v5, v1
.LBB0_12:
	s_or_b64 exec, exec, s[2:3]
	s_mov_b32 s0, 0xb21642c9
	v_mul_hi_u32 v27, v4, s0
	v_lshrrev_b32_e32 v27, 4, v27
	v_mul_lo_u32 v27, v27, 23
	v_sub_u32_e32 v4, v4, v27
	v_mul_u32_u24_e32 v4, 33, v4
	v_cmp_gt_u32_e64 s[0:1], 3, v1
	v_lshlrev_b32_e32 v4, 1, v4
	s_and_saveexec_b64 s[2:3], s[0:1]
	s_cbranch_execz .LBB0_14
; %bb.13:
	v_add_f16_e32 v27, v13, v23
	v_mul_f16_e32 v28, 0xbbad, v27
	v_sub_f16_e32 v29, v24, v26
	s_mov_b32 s6, 0xb482
	v_add_f16_e32 v32, v12, v19
	v_mul_f16_e32 v30, 0x3abb, v32
	v_sub_f16_e32 v31, v22, v25
	s_movk_i32 s7, 0x3853
	v_add_f16_e32 v33, v11, v16
	v_fma_f16 v42, v29, s6, v28
	v_mul_f16_e32 v34, 0xb93d, v33
	v_sub_f16_e32 v35, v20, v21
	s_mov_b32 s12, 0xba0c
	v_add_f16_e32 v36, v9, v10
	v_add_f16_e32 v42, v0, v42
	v_fma_f16 v43, v31, s7, v30
	v_mul_f16_e32 v37, 0x36a6, v36
	v_sub_f16_e32 v38, v17, v18
	s_movk_i32 s13, 0x3b47
	v_add_f16_e32 v39, v7, v8
	v_add_f16_e32 v42, v42, v43
	v_fma_f16 v43, v35, s12, v34
	v_mul_f16_e32 v40, 0xb08e, v39
	v_sub_f16_e32 v41, v14, v15
	s_mov_b32 s14, 0xbbeb
	v_add_f16_e32 v42, v42, v43
	v_fma_f16 v43, v38, s13, v37
	v_add_f16_e32 v42, v42, v43
	v_fma_f16 v43, v41, s14, v40
	s_mov_b32 s7, 0xbb47b853
	v_add_f16_e32 v42, v42, v43
	s_mov_b32 s6, 0x36a63abb
	v_pk_mul_f16 v43, v29, s7 op_sel_hi:[0,1]
	s_mov_b32 s12, 0xba0cbb47
	s_mov_b32 s7, 0xb93d36a6
	v_pk_mul_f16 v44, v31, s12 op_sel_hi:[0,1]
	s_mov_b32 s13, 0x3482bbeb
	v_pk_fma_f16 v48, v27, s6, v43 op_sel_hi:[0,1,1]
	s_mov_b32 s12, 0xbbadb08e
	v_pk_mul_f16 v45, v35, s13 op_sel_hi:[0,1]
	s_mov_b32 s14, 0x3bebba0c
	v_pk_add_f16 v48, v0, v48 op_sel_hi:[0,1]
	v_pk_fma_f16 v49, v32, s7, v44 op_sel_hi:[0,1,1]
	s_mov_b32 s13, 0xb08eb93d
	v_pk_mul_f16 v46, v38, s14 op_sel_hi:[0,1]
	s_mov_b32 s15, 0x3853b482
	v_pk_add_f16 v48, v48, v49
	v_pk_fma_f16 v49, v33, s12, v45 op_sel_hi:[0,1,1]
	s_mov_b32 s14, 0x3abbbbad
	v_pk_mul_f16 v47, v41, s15 op_sel_hi:[0,1]
	v_pk_add_f16 v48, v48, v49
	v_pk_fma_f16 v49, v36, s13, v46 op_sel_hi:[0,1,1]
	v_pk_add_f16 v48, v48, v49
	v_pk_fma_f16 v49, v39, s14, v47 op_sel_hi:[0,1,1]
	s_mov_b32 s15, 0xb93db08e
	v_pk_add_f16 v48, v48, v49
	v_pk_mul_f16 v49, v27, s15 op_sel_hi:[0,1]
	s_mov_b32 s15, 0xba0cbbeb
	s_mov_b32 s16, 0xb08ebbad
	v_pk_mul_f16 v50, v29, s15 op_sel_hi:[0,1]
	v_pk_mul_f16 v51, v32, s16 op_sel_hi:[0,1]
	s_mov_b32 s16, 0x3beb3482
	s_mov_b32 s17, 0x3abb36a6
	v_pk_mul_f16 v52, v31, s16 op_sel_hi:[0,1]
	v_pk_mul_f16 v53, v33, s17 op_sel_hi:[0,1]
	s_mov_b32 s17, 0xb8533b47
	v_sub_f16_e32 v55, v49, v50
	v_pk_mul_f16 v54, v35, s17 op_sel_hi:[0,1]
	v_add_f16_e32 v55, v0, v55
	v_sub_f16_e32 v56, v51, v52
	s_mov_b32 s18, 0xbbad3abb
	v_add_f16_e32 v55, v55, v56
	v_sub_f16_e32 v56, v53, v54
	v_add_f16_e32 v55, v55, v56
	v_pk_mul_f16 v56, v36, s18 op_sel_hi:[0,1]
	s_mov_b32 s18, 0xb482b853
	v_pk_mul_f16 v57, v38, s18 op_sel_hi:[0,1]
	v_sub_f16_e32 v58, v56, v57
	s_mov_b32 s19, 0x36a6b93d
	s_mov_b32 s20, 0x3b47ba0c
	v_add_f16_e32 v55, v55, v58
	v_pk_mul_f16 v58, v39, s19 op_sel_hi:[0,1]
	v_pk_mul_f16 v59, v41, s20 op_sel_hi:[0,1]
	v_sub_f16_e32 v60, v58, v59
	v_add_f16_e32 v55, v55, v60
	v_pk_fma_f16 v60, v29, s15, v49 op_sel_hi:[0,1,1]
	v_pk_add_f16 v60, v0, v60 op_sel_hi:[0,1]
	v_pk_fma_f16 v61, v31, s16, v51 op_sel_hi:[0,1,1]
	v_pk_add_f16 v60, v60, v61
	v_pk_fma_f16 v61, v35, s17, v53 op_sel_hi:[0,1,1]
	s_mov_b32 s15, 0xffff
	v_mul_f16_e32 v29, 0xb482, v29
	v_pk_add_f16 v60, v60, v61
	v_pk_fma_f16 v61, v38, s18, v56 op_sel_hi:[0,1,1]
	v_bfi_b32 v28, s15, v28, v49
	v_bfi_b32 v29, s15, v29, v50
	v_pk_add_f16 v60, v60, v61
	v_pk_fma_f16 v61, v41, s20, v58 op_sel_hi:[0,1,1]
	v_pk_add_f16 v28, v28, v29 neg_lo:[0,1] neg_hi:[0,1]
	v_bfi_b32 v29, s15, v30, v51
	v_mul_f16_e32 v30, 0x3853, v31
	v_mul_f16_e32 v31, 0xba0c, v35
	;; [unrolled: 1-line block ×4, first 2 shown]
	v_add_f16_e32 v41, v0, v13
	v_add_f16_e32 v41, v41, v12
	v_bfi_b32 v30, s15, v30, v52
	v_add_f16_e32 v41, v41, v11
	v_add_f16_e32 v41, v41, v9
	v_pk_add_f16 v29, v29, v30 neg_lo:[0,1] neg_hi:[0,1]
	v_mul_u32_u24_e32 v30, 22, v1
	v_pk_add_f16 v28, v0, v28 op_sel_hi:[0,1]
	v_add_f16_e32 v41, v41, v7
	v_add3_u32 v49, 0, v30, v4
	v_pk_add_f16 v28, v28, v29
	v_bfi_b32 v29, s15, v34, v53
	v_bfi_b32 v30, s15, v31, v54
	v_pk_fma_f16 v27, v27, s6, v43 op_sel_hi:[0,1,1] neg_lo:[0,0,1] neg_hi:[0,0,1]
	v_add_f16_e32 v41, v41, v8
	v_pk_add_f16 v29, v29, v30 neg_lo:[0,1] neg_hi:[0,1]
	v_pk_add_f16 v0, v0, v27 op_sel_hi:[0,1]
	v_pk_fma_f16 v27, v32, s7, v44 op_sel_hi:[0,1,1] neg_lo:[0,0,1] neg_hi:[0,0,1]
	v_add_f16_e32 v41, v10, v41
	v_pk_add_f16 v28, v28, v29
	v_bfi_b32 v29, s15, v37, v56
	v_bfi_b32 v30, s15, v35, v57
	v_pk_add_f16 v0, v0, v27
	v_pk_fma_f16 v27, v33, s12, v45 op_sel_hi:[0,1,1] neg_lo:[0,0,1] neg_hi:[0,0,1]
	v_add_f16_e32 v41, v16, v41
	v_pk_add_f16 v29, v29, v30 neg_lo:[0,1] neg_hi:[0,1]
	v_pk_add_f16 v0, v0, v27
	v_pk_fma_f16 v27, v36, s13, v46 op_sel_hi:[0,1,1] neg_lo:[0,0,1] neg_hi:[0,0,1]
	v_add_f16_e32 v41, v19, v41
	v_pk_add_f16 v28, v28, v29
	v_bfi_b32 v29, s15, v40, v58
	v_bfi_b32 v30, s15, v38, v59
	v_pk_add_f16 v0, v0, v27
	v_pk_fma_f16 v27, v39, s14, v47 op_sel_hi:[0,1,1] neg_lo:[0,0,1] neg_hi:[0,0,1]
	v_pk_add_f16 v60, v60, v61
	v_add_f16_e32 v41, v23, v41
	v_pk_add_f16 v29, v29, v30 neg_lo:[0,1] neg_hi:[0,1]
	v_pk_add_f16 v0, v0, v27
	v_pk_add_f16 v31, v28, v29
	v_alignbit_b32 v30, v42, v60, 16
	v_alignbit_b32 v29, v60, v48, 16
	v_pack_b32_f16 v28, v41, v48
	v_alignbit_b32 v0, v0, v0, 16
	ds_write_b128 v49, v[28:31]
	ds_write_b16 v49, v55 offset:16
	ds_write_b32 v49, v0 offset:18
.LBB0_14:
	s_or_b64 exec, exec, s[2:3]
	v_lshlrev_b32_e32 v0, 1, v1
	v_add3_u32 v30, 0, v4, v0
	v_add_u32_e32 v32, 0, v0
	s_waitcnt lgkmcnt(0)
	s_barrier
	v_add_u32_e32 v31, v32, v4
	ds_read_u16 v27, v30
	ds_read_u16 v28, v31 offset:22
	ds_read_u16 v29, v31 offset:44
	s_waitcnt lgkmcnt(0)
	s_barrier
	s_and_saveexec_b64 s[2:3], s[0:1]
	s_cbranch_execz .LBB0_16
; %bb.15:
	v_add_f16_e32 v33, v6, v24
	v_add_f16_e32 v33, v33, v22
	;; [unrolled: 1-line block ×9, first 2 shown]
	v_sub_f16_e32 v13, v13, v23
	v_add_f16_e32 v33, v26, v33
	v_add_f16_e32 v24, v24, v26
	s_mov_b32 s0, 0xbbad
	v_mul_f16_e32 v26, 0xb482, v13
	v_sub_f16_e32 v12, v12, v19
	v_fma_f16 v34, v24, s0, -v26
	v_add_f16_e32 v22, v22, v25
	s_movk_i32 s0, 0x3abb
	v_mul_f16_e32 v25, 0x3853, v12
	v_sub_f16_e32 v11, v11, v16
	v_add_f16_e32 v34, v6, v34
	v_fma_f16 v35, v22, s0, -v25
	v_add_f16_e32 v20, v20, v21
	s_mov_b32 s0, 0xb93d
	v_mul_f16_e32 v21, 0xba0c, v11
	v_sub_f16_e32 v9, v9, v10
	v_add_f16_e32 v34, v34, v35
	v_fma_f16 v35, v20, s0, -v21
	v_add_f16_e32 v17, v17, v18
	s_movk_i32 s0, 0x36a6
	v_mul_f16_e32 v18, 0x3b47, v9
	s_mov_b32 s1, 0xbb47b853
	v_add_f16_e32 v34, v34, v35
	v_fma_f16 v35, v17, s0, -v18
	v_sub_f16_e32 v7, v7, v8
	s_mov_b32 s0, 0x36a63abb
	v_pk_mul_f16 v8, v13, s1 op_sel_hi:[0,1]
	s_mov_b32 s6, 0xba0cbb47
	v_add_f16_e32 v34, v34, v35
	v_add_f16_e32 v14, v14, v15
	v_pk_fma_f16 v15, v24, s0, v8 op_sel_hi:[0,1,1] neg_lo:[0,0,1] neg_hi:[0,0,1]
	s_mov_b32 s1, 0xb93d36a6
	v_pk_mul_f16 v35, v12, s6 op_sel_hi:[0,1]
	v_pk_add_f16 v15, v6, v15 op_sel_hi:[0,1]
	v_pk_fma_f16 v36, v22, s1, v35 op_sel_hi:[0,1,1] neg_lo:[0,0,1] neg_hi:[0,0,1]
	s_mov_b32 s7, 0x3482bbeb
	v_pk_add_f16 v15, v15, v36
	s_mov_b32 s6, 0xbbadb08e
	v_pk_mul_f16 v36, v11, s7 op_sel_hi:[0,1]
	v_pk_fma_f16 v37, v20, s6, v36 op_sel_hi:[0,1,1] neg_lo:[0,0,1] neg_hi:[0,0,1]
	s_mov_b32 s12, 0x3bebba0c
	v_pk_fma_f16 v8, v24, s0, v8 op_sel_hi:[0,1,1]
	v_pk_add_f16 v15, v15, v37
	s_mov_b32 s7, 0xb08eb93d
	v_pk_mul_f16 v37, v9, s12 op_sel_hi:[0,1]
	v_pk_add_f16 v8, v6, v8 op_sel_hi:[0,1]
	v_pk_fma_f16 v35, v22, s1, v35 op_sel_hi:[0,1,1]
	v_pk_fma_f16 v38, v17, s7, v37 op_sel_hi:[0,1,1] neg_lo:[0,0,1] neg_hi:[0,0,1]
	s_mov_b32 s13, 0x3853b482
	v_pk_add_f16 v8, v8, v35
	v_pk_fma_f16 v35, v20, s6, v36 op_sel_hi:[0,1,1]
	v_pk_add_f16 v15, v15, v38
	s_mov_b32 s12, 0x3abbbbad
	v_pk_mul_f16 v38, v7, s13 op_sel_hi:[0,1]
	v_pk_add_f16 v8, v8, v35
	v_pk_fma_f16 v35, v17, s7, v37 op_sel_hi:[0,1,1]
	s_mov_b32 s1, 0xba0cbbeb
	v_pk_add_f16 v8, v8, v35
	v_pk_fma_f16 v35, v14, s12, v38 op_sel_hi:[0,1,1]
	s_mov_b32 s0, 0xb93db08e
	v_pk_mul_f16 v13, v13, s1 op_sel_hi:[0,1]
	s_mov_b32 s1, 0x3beb3482
	v_mul_f16_e32 v23, 0xbbad, v24
	v_pk_add_f16 v35, v8, v35
	v_pk_mul_f16 v8, v24, s0 op_sel_hi:[0,1]
	v_pk_fma_f16 v24, v24, s0, v13 op_sel_hi:[0,1,1] neg_lo:[0,0,1] neg_hi:[0,0,1]
	s_mov_b32 s0, 0xb08ebbad
	v_pk_mul_f16 v12, v12, s1 op_sel_hi:[0,1]
	s_mov_b32 s1, 0xb8533b47
	v_mul_f16_e32 v19, 0x3abb, v22
	v_add_f16_e32 v36, v8, v13
	v_pk_add_f16 v24, v6, v24 op_sel_hi:[0,1]
	v_pk_mul_f16 v37, v22, s0 op_sel_hi:[0,1]
	v_pk_fma_f16 v22, v22, s0, v12 op_sel_hi:[0,1,1] neg_lo:[0,0,1] neg_hi:[0,0,1]
	s_mov_b32 s0, 0x3abb36a6
	v_pk_mul_f16 v11, v11, s1 op_sel_hi:[0,1]
	v_mul_f16_e32 v16, 0xb93d, v20
	v_pk_fma_f16 v39, v14, s12, v38 op_sel_hi:[0,1,1] neg_lo:[0,0,1] neg_hi:[0,0,1]
	v_add_f16_e32 v36, v6, v36
	v_add_f16_e32 v38, v37, v12
	v_pk_add_f16 v22, v24, v22
	v_pk_mul_f16 v24, v20, s0 op_sel_hi:[0,1]
	v_pk_fma_f16 v20, v20, s0, v11 op_sel_hi:[0,1,1] neg_lo:[0,0,1] neg_hi:[0,0,1]
	s_mov_b32 s0, 0xbbad3abb
	s_mov_b32 s1, 0xb482b853
	v_add_f16_e32 v36, v36, v38
	v_add_f16_e32 v38, v24, v11
	v_pk_add_f16 v20, v22, v20
	v_pk_mul_f16 v22, v17, s0 op_sel_hi:[0,1]
	v_pk_mul_f16 v9, v9, s1 op_sel_hi:[0,1]
	v_add_f16_e32 v36, v36, v38
	v_add_f16_e32 v38, v22, v9
	s_mov_b32 s1, 0x3b47ba0c
	v_mul_f16_e32 v10, 0x36a6, v17
	v_add_f16_e32 v36, v36, v38
	v_pk_fma_f16 v17, v17, s0, v9 op_sel_hi:[0,1,1] neg_lo:[0,0,1] neg_hi:[0,0,1]
	s_mov_b32 s0, 0x36a6b93d
	v_pk_mul_f16 v38, v7, s1 op_sel_hi:[0,1]
	v_pk_add_f16 v15, v15, v39
	v_pk_add_f16 v17, v20, v17
	v_pk_mul_f16 v20, v14, s0 op_sel_hi:[0,1]
	v_pk_fma_f16 v39, v14, s0, v38 op_sel_hi:[0,1,1] neg_lo:[0,0,1] neg_hi:[0,0,1]
	s_mov_b32 s0, 0xb08e
	v_mul_f16_e32 v7, 0xbbeb, v7
	v_pk_add_f16 v17, v17, v39
	v_mul_f16_e32 v39, 0xb08e, v14
	v_fma_f16 v14, v14, s0, -v7
	s_mov_b32 s0, 0xffff
	v_bfi_b32 v8, s0, v23, v8
	v_bfi_b32 v13, s0, v26, v13
	v_pk_add_f16 v8, v8, v13
	v_bfi_b32 v12, s0, v25, v12
	v_pk_add_f16 v6, v6, v8 op_sel_hi:[0,1]
	v_bfi_b32 v8, s0, v19, v37
	v_pk_add_f16 v8, v8, v12
	v_bfi_b32 v11, s0, v21, v11
	v_pk_add_f16 v6, v6, v8
	;; [unrolled: 2-line block ×6, first 2 shown]
	v_bfi_b32 v8, s0, v39, v20
	v_add_f16_e32 v14, v34, v14
	v_pk_add_f16 v7, v8, v7
	v_mul_u32_u24_e32 v1, 20, v1
	v_add_f16_e32 v40, v20, v38
	v_pk_add_f16 v9, v6, v7
	v_add3_u32 v1, v32, v1, v4
	v_alignbit_b32 v8, v14, v17, 16
	v_alignbit_b32 v7, v17, v15, 16
	v_pack_b32_f16 v6, v33, v15
	v_alignbit_b32 v4, v35, v35, 16
	v_add_f16_e32 v36, v36, v40
	ds_write_b128 v1, v[6:9]
	ds_write_b16 v1, v36 offset:16
	ds_write_b32 v1, v4 offset:18
.LBB0_16:
	s_or_b64 exec, exec, s[2:3]
	s_waitcnt lgkmcnt(0)
	s_barrier
	s_and_saveexec_b64 s[0:1], vcc
	s_cbranch_execz .LBB0_18
; %bb.17:
	v_mov_b32_e32 v1, 0
	v_lshl_add_u64 v[0:1], v[0:1], 2, s[4:5]
	global_load_dwordx2 v[0:1], v[0:1], off
	ds_read_u16 v15, v30
	ds_read_u16 v16, v31 offset:22
	ds_read_u16 v17, v31 offset:44
	v_mad_u64_u32 v[6:7], s[0:1], s8, v5, 0
	v_add_u32_e32 v13, 11, v5
	v_add_u32_e32 v18, 22, v5
	v_mov_b32_e32 v4, v7
	v_mad_u64_u32 v[8:9], s[0:1], s8, v13, 0
	v_mad_u64_u32 v[10:11], s[0:1], s8, v18, 0
	;; [unrolled: 1-line block ×3, first 2 shown]
	v_mov_b32_e32 v12, v9
	v_mov_b32_e32 v14, v11
	;; [unrolled: 1-line block ×3, first 2 shown]
	v_mad_u64_u32 v[4:5], s[0:1], s9, v13, v[12:13]
	s_waitcnt lgkmcnt(2)
	v_mad_u64_u32 v[12:13], s[0:1], s9, v18, v[14:15]
	v_lshl_add_u64 v[2:3], v[2:3], 2, s[10:11]
	v_mov_b32_e32 v9, v4
	v_mov_b32_e32 v11, v12
	v_lshl_add_u64 v[6:7], v[6:7], 2, v[2:3]
	v_lshl_add_u64 v[4:5], v[8:9], 2, v[2:3]
	;; [unrolled: 1-line block ×3, first 2 shown]
	s_mov_b32 s2, 0xbaee
	s_movk_i32 s3, 0x3aee
	s_waitcnt vmcnt(0)
	v_mul_f16_sdwa v8, v28, v0 dst_sel:DWORD dst_unused:UNUSED_PAD src0_sel:DWORD src1_sel:WORD_1
	v_mul_f16_sdwa v9, v29, v1 dst_sel:DWORD dst_unused:UNUSED_PAD src0_sel:DWORD src1_sel:WORD_1
	s_waitcnt lgkmcnt(1)
	v_mul_f16_sdwa v10, v16, v0 dst_sel:DWORD dst_unused:UNUSED_PAD src0_sel:DWORD src1_sel:WORD_1
	s_waitcnt lgkmcnt(0)
	v_mul_f16_sdwa v11, v17, v1 dst_sel:DWORD dst_unused:UNUSED_PAD src0_sel:DWORD src1_sel:WORD_1
	v_fma_f16 v8, v16, v0, -v8
	v_fma_f16 v9, v17, v1, -v9
	v_fma_f16 v0, v28, v0, v10
	v_fma_f16 v1, v29, v1, v11
	v_add_f16_e32 v10, v8, v9
	v_sub_f16_e32 v11, v0, v1
	v_add_f16_e32 v12, v0, v1
	v_sub_f16_e32 v13, v8, v9
	v_add_f16_e32 v8, v15, v8
	v_add_f16_e32 v0, v27, v0
	v_fma_f16 v10, v10, -0.5, v15
	v_fma_f16 v12, v12, -0.5, v27
	v_add_f16_e32 v8, v8, v9
	v_add_f16_e32 v0, v0, v1
	v_fma_f16 v1, v11, s2, v10
	v_fma_f16 v10, v11, s3, v10
	;; [unrolled: 1-line block ×3, first 2 shown]
	v_pack_b32_f16 v0, v0, v8
	v_fma_f16 v9, v13, s3, v12
	global_store_dword v[6:7], v0, off
	v_pack_b32_f16 v0, v11, v10
	v_pack_b32_f16 v1, v9, v1
	global_store_dword v[4:5], v0, off
	global_store_dword v[2:3], v1, off
.LBB0_18:
	s_endpgm
	.section	.rodata,"a",@progbits
	.p2align	6, 0x0
	.amdhsa_kernel fft_rtc_back_len33_factors_11_3_wgs_253_tpt_11_halfLds_half_ip_CI_sbrr_dirReg
		.amdhsa_group_segment_fixed_size 0
		.amdhsa_private_segment_fixed_size 0
		.amdhsa_kernarg_size 88
		.amdhsa_user_sgpr_count 2
		.amdhsa_user_sgpr_dispatch_ptr 0
		.amdhsa_user_sgpr_queue_ptr 0
		.amdhsa_user_sgpr_kernarg_segment_ptr 1
		.amdhsa_user_sgpr_dispatch_id 0
		.amdhsa_user_sgpr_kernarg_preload_length 0
		.amdhsa_user_sgpr_kernarg_preload_offset 0
		.amdhsa_user_sgpr_private_segment_size 0
		.amdhsa_uses_dynamic_stack 0
		.amdhsa_enable_private_segment 0
		.amdhsa_system_sgpr_workgroup_id_x 1
		.amdhsa_system_sgpr_workgroup_id_y 0
		.amdhsa_system_sgpr_workgroup_id_z 0
		.amdhsa_system_sgpr_workgroup_info 0
		.amdhsa_system_vgpr_workitem_id 0
		.amdhsa_next_free_vgpr 62
		.amdhsa_next_free_sgpr 24
		.amdhsa_accum_offset 64
		.amdhsa_reserve_vcc 1
		.amdhsa_float_round_mode_32 0
		.amdhsa_float_round_mode_16_64 0
		.amdhsa_float_denorm_mode_32 3
		.amdhsa_float_denorm_mode_16_64 3
		.amdhsa_dx10_clamp 1
		.amdhsa_ieee_mode 1
		.amdhsa_fp16_overflow 0
		.amdhsa_tg_split 0
		.amdhsa_exception_fp_ieee_invalid_op 0
		.amdhsa_exception_fp_denorm_src 0
		.amdhsa_exception_fp_ieee_div_zero 0
		.amdhsa_exception_fp_ieee_overflow 0
		.amdhsa_exception_fp_ieee_underflow 0
		.amdhsa_exception_fp_ieee_inexact 0
		.amdhsa_exception_int_div_zero 0
	.end_amdhsa_kernel
	.text
.Lfunc_end0:
	.size	fft_rtc_back_len33_factors_11_3_wgs_253_tpt_11_halfLds_half_ip_CI_sbrr_dirReg, .Lfunc_end0-fft_rtc_back_len33_factors_11_3_wgs_253_tpt_11_halfLds_half_ip_CI_sbrr_dirReg
                                        ; -- End function
	.section	.AMDGPU.csdata,"",@progbits
; Kernel info:
; codeLenInByte = 4432
; NumSgprs: 30
; NumVgprs: 62
; NumAgprs: 0
; TotalNumVgprs: 62
; ScratchSize: 0
; MemoryBound: 0
; FloatMode: 240
; IeeeMode: 1
; LDSByteSize: 0 bytes/workgroup (compile time only)
; SGPRBlocks: 3
; VGPRBlocks: 7
; NumSGPRsForWavesPerEU: 30
; NumVGPRsForWavesPerEU: 62
; AccumOffset: 64
; Occupancy: 8
; WaveLimiterHint : 1
; COMPUTE_PGM_RSRC2:SCRATCH_EN: 0
; COMPUTE_PGM_RSRC2:USER_SGPR: 2
; COMPUTE_PGM_RSRC2:TRAP_HANDLER: 0
; COMPUTE_PGM_RSRC2:TGID_X_EN: 1
; COMPUTE_PGM_RSRC2:TGID_Y_EN: 0
; COMPUTE_PGM_RSRC2:TGID_Z_EN: 0
; COMPUTE_PGM_RSRC2:TIDIG_COMP_CNT: 0
; COMPUTE_PGM_RSRC3_GFX90A:ACCUM_OFFSET: 15
; COMPUTE_PGM_RSRC3_GFX90A:TG_SPLIT: 0
	.text
	.p2alignl 6, 3212836864
	.fill 256, 4, 3212836864
	.type	__hip_cuid_d2b537bb1e1d5a35,@object ; @__hip_cuid_d2b537bb1e1d5a35
	.section	.bss,"aw",@nobits
	.globl	__hip_cuid_d2b537bb1e1d5a35
__hip_cuid_d2b537bb1e1d5a35:
	.byte	0                               ; 0x0
	.size	__hip_cuid_d2b537bb1e1d5a35, 1

	.ident	"AMD clang version 19.0.0git (https://github.com/RadeonOpenCompute/llvm-project roc-6.4.0 25133 c7fe45cf4b819c5991fe208aaa96edf142730f1d)"
	.section	".note.GNU-stack","",@progbits
	.addrsig
	.addrsig_sym __hip_cuid_d2b537bb1e1d5a35
	.amdgpu_metadata
---
amdhsa.kernels:
  - .agpr_count:     0
    .args:
      - .actual_access:  read_only
        .address_space:  global
        .offset:         0
        .size:           8
        .value_kind:     global_buffer
      - .offset:         8
        .size:           8
        .value_kind:     by_value
      - .actual_access:  read_only
        .address_space:  global
        .offset:         16
        .size:           8
        .value_kind:     global_buffer
      - .actual_access:  read_only
        .address_space:  global
        .offset:         24
        .size:           8
        .value_kind:     global_buffer
      - .offset:         32
        .size:           8
        .value_kind:     by_value
      - .actual_access:  read_only
        .address_space:  global
        .offset:         40
        .size:           8
        .value_kind:     global_buffer
      - .actual_access:  read_only
        .address_space:  global
        .offset:         48
        .size:           8
        .value_kind:     global_buffer
      - .offset:         56
        .size:           4
        .value_kind:     by_value
      - .actual_access:  read_only
        .address_space:  global
        .offset:         64
        .size:           8
        .value_kind:     global_buffer
      - .actual_access:  read_only
        .address_space:  global
        .offset:         72
        .size:           8
        .value_kind:     global_buffer
      - .address_space:  global
        .offset:         80
        .size:           8
        .value_kind:     global_buffer
    .group_segment_fixed_size: 0
    .kernarg_segment_align: 8
    .kernarg_segment_size: 88
    .language:       OpenCL C
    .language_version:
      - 2
      - 0
    .max_flat_workgroup_size: 253
    .name:           fft_rtc_back_len33_factors_11_3_wgs_253_tpt_11_halfLds_half_ip_CI_sbrr_dirReg
    .private_segment_fixed_size: 0
    .sgpr_count:     30
    .sgpr_spill_count: 0
    .symbol:         fft_rtc_back_len33_factors_11_3_wgs_253_tpt_11_halfLds_half_ip_CI_sbrr_dirReg.kd
    .uniform_work_group_size: 1
    .uses_dynamic_stack: false
    .vgpr_count:     62
    .vgpr_spill_count: 0
    .wavefront_size: 64
amdhsa.target:   amdgcn-amd-amdhsa--gfx950
amdhsa.version:
  - 1
  - 2
...

	.end_amdgpu_metadata
